;; amdgpu-corpus repo=ROCm/rocFFT kind=compiled arch=gfx950 opt=O3
	.text
	.amdgcn_target "amdgcn-amd-amdhsa--gfx950"
	.amdhsa_code_object_version 6
	.protected	fft_rtc_back_len50_factors_10_5_wgs_50_tpt_5_half_op_CI_CI_sbrc_z_xy_unaligned ; -- Begin function fft_rtc_back_len50_factors_10_5_wgs_50_tpt_5_half_op_CI_CI_sbrc_z_xy_unaligned
	.globl	fft_rtc_back_len50_factors_10_5_wgs_50_tpt_5_half_op_CI_CI_sbrc_z_xy_unaligned
	.p2align	8
	.type	fft_rtc_back_len50_factors_10_5_wgs_50_tpt_5_half_op_CI_CI_sbrc_z_xy_unaligned,@function
fft_rtc_back_len50_factors_10_5_wgs_50_tpt_5_half_op_CI_CI_sbrc_z_xy_unaligned: ; @fft_rtc_back_len50_factors_10_5_wgs_50_tpt_5_half_op_CI_CI_sbrc_z_xy_unaligned
; %bb.0:
	s_load_dwordx8 s[8:15], s[0:1], 0x0
	s_waitcnt lgkmcnt(0)
	s_load_dwordx4 s[16:19], s[12:13], 0x8
	s_load_dwordx2 s[4:5], s[0:1], 0x20
	s_load_dwordx4 s[20:23], s[14:15], 0x0
	s_nop 0
	s_load_dword s12, s[14:15], 0x10
	s_waitcnt lgkmcnt(0)
	s_add_i32 s3, s16, -1
	s_mul_hi_u32 s3, s3, 0xcccccccd
	s_lshr_b32 s3, s3, 3
	s_add_i32 s6, s3, 1
	s_mul_i32 s7, s6, s18
	v_cvt_f32_u32_e32 v2, s7
	v_cvt_f32_u32_e32 v1, s6
	s_sub_i32 s13, 0, s7
	v_rcp_iflag_f32_e32 v2, v2
	v_rcp_iflag_f32_e32 v1, v1
	v_mul_f32_e32 v2, 0x4f7ffffe, v2
	v_cvt_u32_f32_e32 v2, v2
	v_mul_f32_e32 v1, 0x4f7ffffe, v1
	v_cvt_u32_f32_e32 v1, v1
	v_readfirstlane_b32 s17, v2
	s_mul_i32 s13, s13, s17
	s_mul_hi_u32 s13, s17, s13
	s_add_i32 s17, s17, s13
	s_mul_hi_u32 s13, s2, s17
	s_mul_i32 s17, s13, s7
	s_sub_i32 s17, s2, s17
	s_add_i32 s19, s13, 1
	s_sub_i32 s24, s17, s7
	s_cmp_ge_u32 s17, s7
	s_cselect_b32 s13, s19, s13
	s_cselect_b32 s17, s24, s17
	s_add_i32 s19, s13, 1
	s_cmp_ge_u32 s17, s7
	v_readfirstlane_b32 s18, v1
	s_cselect_b32 s17, s19, s13
	s_not_b32 s3, s3
	s_mul_i32 s3, s3, s18
	s_mul_i32 s7, s17, s7
	s_mul_hi_u32 s3, s18, s3
	s_sub_i32 s7, s2, s7
	s_add_i32 s18, s18, s3
	s_mul_hi_u32 s3, s7, s18
	s_mul_i32 s13, s3, s6
	s_sub_i32 s7, s7, s13
	s_add_i32 s19, s3, 1
	s_sub_i32 s13, s7, s6
	s_cmp_ge_u32 s7, s6
	s_cselect_b32 s3, s19, s3
	s_cselect_b32 s7, s13, s7
	s_add_i32 s13, s3, 1
	s_cmp_ge_u32 s7, s6
	s_cselect_b32 s33, s13, s3
	s_mul_hi_u32 s3, s2, s18
	s_mul_i32 s3, s3, s6
	s_sub_i32 s3, s2, s3
	s_sub_i32 s7, s3, s6
	s_cmp_ge_u32 s3, s6
	s_cselect_b32 s3, s7, s3
	s_sub_i32 s7, s3, s6
	s_cmp_ge_u32 s3, s6
	s_cselect_b32 s3, s7, s3
	s_mul_i32 s36, s3, 10
	s_mul_i32 s6, s33, s12
	;; [unrolled: 1-line block ×3, first 2 shown]
	s_add_i32 s28, s7, s6
	s_lshl_b64 s[10:11], s[10:11], 3
	s_add_u32 s18, s14, s10
	s_addc_u32 s19, s15, s11
	s_load_dwordx2 s[26:27], s[18:19], 0x0
	s_load_dwordx2 s[24:25], s[0:1], 0x58
	s_load_dwordx4 s[12:15], s[4:5], 0x0
	s_load_dwordx2 s[6:7], s[4:5], 0x10
	v_mul_u32_u24_e32 v1, 0x51f, v0
	s_waitcnt lgkmcnt(0)
	s_mul_i32 s7, s27, s17
	s_mul_hi_u32 s15, s26, s17
	s_add_i32 s15, s15, s7
	s_mul_i32 s7, s26, s17
	s_add_u32 s26, s7, s28
	s_addc_u32 s27, s15, 0
	s_add_u32 s4, s4, s10
	s_addc_u32 s5, s5, s11
	s_load_dwordx2 s[10:11], s[4:5], 0x0
	s_add_i32 s4, s36, 10
	s_cmp_le_u32 s4, s16
	v_lshrrev_b32_e32 v2, 16, v1
	s_cselect_b64 s[18:19], -1, 0
	v_mul_lo_u16_e32 v1, 50, v2
	v_sub_u16_e32 v3, v0, v1
	s_mov_b64 s[4:5], -1
	s_and_b64 vcc, exec, s[18:19]
	s_cbranch_vccnz .LBB0_12
; %bb.1:
	v_add_u32_e32 v9, s36, v2
	v_cmp_gt_u32_e32 vcc, s16, v9
	s_and_saveexec_b64 s[28:29], vcc
	s_cbranch_execz .LBB0_11
; %bb.2:
	v_mad_u64_u32 v[4:5], s[4:5], s20, v3, 0
	v_mov_b32_e32 v6, v5
	v_mad_u64_u32 v[6:7], s[4:5], s21, v3, v[6:7]
	s_lshl_b64 s[4:5], s[26:27], 2
	s_add_u32 s4, s24, s4
	s_addc_u32 s5, s25, s5
	s_sub_i32 s3, s2, s3
	s_mul_i32 s3, s3, 10
	s_add_i32 s3, s3, s16
	v_mov_b32_e32 v5, v6
	v_sub_u32_e32 v10, s3, v2
	v_lshl_add_u64 v[4:5], v[4:5], 2, s[4:5]
	v_mad_u64_u32 v[6:7], s[4:5], s2, -10, v[10:11]
	v_cmp_gt_u32_e32 vcc, 12, v6
	v_cmp_lt_u32_e64 s[4:5], 11, v6
	v_mov_b32_e32 v1, 0
	s_and_saveexec_b64 s[30:31], s[4:5]
	s_cbranch_execz .LBB0_8
; %bb.3:
	v_subrev_u32_e32 v8, s3, v2
	s_cmp_eq_u64 s[22:23], 1
	v_mad_u64_u32 v[12:13], s[2:3], s2, 10, v[8:9]
	s_cselect_b64 s[4:5], -1, 0
	v_cmp_ge_u32_e64 s[2:3], v12, v2
	s_and_b64 s[34:35], s[4:5], s[2:3]
	s_mov_b64 s[2:3], -1
	v_mov_b32_e32 v1, 0
	s_and_saveexec_b64 s[4:5], s[34:35]
	s_cbranch_execz .LBB0_7
; %bb.4:
	v_and_b32_e32 v7, 1, v10
	v_add_u32_e32 v9, v9, v7
	s_mov_b32 s7, 0
	v_lshl_add_u32 v8, v3, 2, 0
	s_mov_b32 s15, 1
	v_mov_b32_e32 v1, v2
	v_subrev_u32_e32 v9, s16, v9
	s_mov_b64 s[34:35], 0
	v_mov_b32_e32 v11, 0
	s_movk_i32 s23, 0xc8
.LBB0_5:                                ; =>This Inner Loop Header: Depth=1
	v_add_u32_e32 v14, s7, v2
	v_mul_lo_u32 v10, v14, s22
	v_lshl_add_u64 v[12:13], v[10:11], 2, v[4:5]
	global_load_dwordx2 v[12:13], v[12:13], off
	v_add_u32_e32 v10, s15, v1
	v_add_u32_e32 v9, 2, v9
	v_mad_u64_u32 v[14:15], s[2:3], v14, s23, v[8:9]
	v_mad_u64_u32 v[16:17], s[2:3], v10, s23, v[8:9]
	s_add_i32 s7, s7, 2
	s_add_i32 s15, s15, 2
	v_cmp_eq_u32_e64 s[2:3], 0, v9
	s_or_b64 s[34:35], s[2:3], s[34:35]
	s_waitcnt vmcnt(0)
	ds_write_b32 v14, v12
	ds_write_b32 v16, v13
	s_andn2_b64 exec, exec, s[34:35]
	s_cbranch_execnz .LBB0_5
; %bb.6:
	s_or_b64 exec, exec, s[34:35]
	v_cmp_ne_u32_e64 s[2:3], 0, v7
	v_sub_u32_e32 v1, v6, v7
	s_orn2_b64 s[2:3], s[2:3], exec
.LBB0_7:
	s_or_b64 exec, exec, s[4:5]
	s_andn2_b64 s[4:5], vcc, exec
	s_and_b64 s[2:3], s[2:3], exec
	s_or_b64 vcc, s[4:5], s[2:3]
.LBB0_8:
	s_or_b64 exec, exec, s[30:31]
	s_and_b64 exec, exec, vcc
	s_cbranch_execz .LBB0_11
; %bb.9:
	v_add_u32_e32 v7, v1, v2
	s_movk_i32 s2, 0xc8
	v_mul_lo_u32 v1, v7, s2
	v_lshlrev_b32_e32 v6, 2, v3
	v_add3_u32 v1, v1, v6, 0
	v_mul_lo_u32 v6, v7, s22
	v_add_u32_e32 v8, s36, v7
	s_mov_b64 s[2:3], 0
	v_mov_b32_e32 v7, 0
.LBB0_10:                               ; =>This Inner Loop Header: Depth=1
	v_lshl_add_u64 v[10:11], v[6:7], 2, v[4:5]
	global_load_dword v9, v[10:11], off
	v_add_u32_e32 v8, 1, v8
	v_cmp_le_u32_e32 vcc, s16, v8
	v_add_u32_e32 v6, s22, v6
	s_or_b64 s[2:3], vcc, s[2:3]
	s_waitcnt vmcnt(0)
	ds_write_b32 v1, v9
	v_add_u32_e32 v1, 0xc8, v1
	s_andn2_b64 exec, exec, s[2:3]
	s_cbranch_execnz .LBB0_10
.LBB0_11:
	s_or_b64 exec, exec, s[28:29]
	s_mov_b64 s[4:5], 0
.LBB0_12:
	s_andn2_b64 vcc, exec, s[4:5]
	s_cbranch_vccnz .LBB0_14
; %bb.13:
	v_mad_u64_u32 v[4:5], s[2:3], s20, v3, 0
	v_mov_b32_e32 v6, v5
	v_mad_u64_u32 v[6:7], s[2:3], s21, v3, v[6:7]
	s_lshl_b64 s[2:3], s[26:27], 2
	s_add_u32 s2, s24, s2
	v_mov_b32_e32 v5, v6
	s_addc_u32 s3, s25, s3
	v_mul_lo_u32 v6, s22, v2
	v_mov_b32_e32 v7, 0
	v_lshl_add_u64 v[4:5], v[4:5], 2, s[2:3]
	v_lshl_add_u64 v[8:9], v[6:7], 2, v[4:5]
	v_add_u32_e32 v6, s22, v6
	v_lshl_add_u64 v[10:11], v[6:7], 2, v[4:5]
	v_add_u32_e32 v6, s22, v6
	;; [unrolled: 2-line block ×8, first 2 shown]
	global_load_dword v1, v[8:9], off
	global_load_dword v24, v[10:11], off
	;; [unrolled: 1-line block ×8, first 2 shown]
	v_lshl_add_u64 v[8:9], v[6:7], 2, v[4:5]
	v_add_u32_e32 v6, s22, v6
	v_lshl_add_u64 v[4:5], v[6:7], 2, v[4:5]
	global_load_dword v6, v[8:9], off
	global_load_dword v7, v[4:5], off
	v_mul_u32_u24_e32 v2, 0xc8, v2
	v_lshlrev_b32_e32 v3, 2, v3
	v_add3_u32 v2, 0, v2, v3
	s_waitcnt vmcnt(8)
	ds_write2_b32 v2, v1, v24 offset1:50
	s_waitcnt vmcnt(6)
	ds_write2_b32 v2, v25, v26 offset0:100 offset1:150
	s_waitcnt vmcnt(4)
	ds_write2_b32 v2, v27, v28 offset0:200 offset1:250
	v_add_u32_e32 v1, 0x400, v2
	s_waitcnt vmcnt(2)
	ds_write2_b32 v1, v29, v30 offset0:44 offset1:94
	s_waitcnt vmcnt(0)
	ds_write2_b32 v1, v6, v7 offset0:144 offset1:194
.LBB0_14:
	s_movk_i32 s2, 0x3334
	v_mul_u32_u24_sdwa v1, v0, s2 dst_sel:DWORD dst_unused:UNUSED_PAD src0_sel:WORD_0 src1_sel:DWORD
	v_add_u32_sdwa v1, s36, v1 dst_sel:DWORD dst_unused:UNUSED_PAD src0_sel:DWORD src1_sel:WORD_1
	s_mov_b32 s2, 0xcccccccd
	v_mul_hi_u32 v2, v1, s2
	v_lshrrev_b32_e32 v2, 3, v2
	v_mul_lo_u32 v2, v2, 10
	s_mov_b32 s2, 0x33333334
	v_sub_u32_e32 v1, v1, v2
	v_mul_hi_u32 v2, v0, s2
	v_mul_u32_u24_e32 v2, 5, v2
	v_mul_u32_u24_e32 v1, 50, v1
	v_sub_u32_e32 v10, v0, v2
	v_lshlrev_b32_e32 v1, 2, v1
	v_lshlrev_b32_e32 v2, 2, v10
	v_add3_u32 v11, 0, v1, v2
	v_add3_u32 v1, 0, v2, v1
	s_waitcnt lgkmcnt(0)
	; wave barrier
	s_waitcnt lgkmcnt(0)
	ds_read2_b32 v[2:3], v1 offset0:5 offset1:10
	ds_read2_b32 v[4:5], v1 offset0:15 offset1:20
	;; [unrolled: 1-line block ×3, first 2 shown]
	ds_read_b32 v12, v11
	ds_read2_b32 v[8:9], v1 offset0:35 offset1:40
	s_mov_b32 s4, 0xbb9c
	s_movk_i32 s7, 0x3b9c
	s_waitcnt lgkmcnt(2)
	v_add_f16_e32 v15, v5, v7
	s_waitcnt lgkmcnt(1)
	v_fma_f16 v15, v15, -0.5, v12
	s_waitcnt lgkmcnt(0)
	v_sub_f16_sdwa v16, v3, v9 dst_sel:DWORD dst_unused:UNUSED_PAD src0_sel:WORD_1 src1_sel:WORD_1
	v_fma_f16 v17, v16, s4, v15
	v_sub_f16_sdwa v18, v5, v7 dst_sel:DWORD dst_unused:UNUSED_PAD src0_sel:WORD_1 src1_sel:WORD_1
	s_mov_b32 s2, 0xb8b4
	v_sub_f16_e32 v19, v9, v7
	v_sub_f16_e32 v20, v3, v5
	v_fma_f16 v15, v16, s7, v15
	s_movk_i32 s15, 0x38b4
	v_fma_f16 v17, v18, s2, v17
	v_add_f16_e32 v19, v20, v19
	s_movk_i32 s5, 0x34f2
	v_fma_f16 v15, v18, s15, v15
	v_fma_f16 v17, v19, s5, v17
	;; [unrolled: 1-line block ×3, first 2 shown]
	v_add_f16_e32 v19, v3, v9
	v_fma_f16 v19, v19, -0.5, v12
	v_fma_f16 v20, v18, s7, v19
	v_sub_f16_e32 v21, v7, v9
	v_sub_f16_e32 v22, v5, v3
	v_fma_f16 v18, v18, s4, v19
	v_fma_f16 v20, v16, s2, v20
	v_add_f16_e32 v21, v22, v21
	v_fma_f16 v16, v16, s15, v18
	v_pk_add_f16 v18, v12, v3
	v_add_f16_sdwa v19, v5, v7 dst_sel:DWORD dst_unused:UNUSED_PAD src0_sel:WORD_1 src1_sel:WORD_1
	v_lshrrev_b32_e32 v12, 16, v12
	v_fma_f16 v20, v21, s5, v20
	v_fma_f16 v16, v21, s5, v16
	v_fma_f16 v19, v19, -0.5, v12
	v_sub_f16_e32 v21, v3, v9
	v_fma_f16 v22, v21, s7, v19
	v_sub_f16_e32 v23, v5, v7
	v_sub_f16_sdwa v24, v3, v5 dst_sel:DWORD dst_unused:UNUSED_PAD src0_sel:WORD_1 src1_sel:WORD_1
	v_sub_f16_sdwa v25, v9, v7 dst_sel:DWORD dst_unused:UNUSED_PAD src0_sel:WORD_1 src1_sel:WORD_1
	v_fma_f16 v19, v21, s4, v19
	v_fma_f16 v22, v23, s15, v22
	v_add_f16_e32 v24, v24, v25
	v_fma_f16 v19, v23, s2, v19
	ds_read_b32 v14, v1 offset:180
	v_fma_f16 v22, v24, s5, v22
	v_fma_f16 v19, v24, s5, v19
	v_add_f16_sdwa v24, v3, v9 dst_sel:DWORD dst_unused:UNUSED_PAD src0_sel:WORD_1 src1_sel:WORD_1
	v_pk_add_f16 v18, v18, v5
	v_fma_f16 v12, v24, -0.5, v12
	v_pk_add_f16 v18, v18, v7
	v_fma_f16 v24, v23, s4, v12
	v_sub_f16_sdwa v3, v5, v3 dst_sel:DWORD dst_unused:UNUSED_PAD src0_sel:WORD_1 src1_sel:WORD_1
	v_sub_f16_sdwa v5, v7, v9 dst_sel:DWORD dst_unused:UNUSED_PAD src0_sel:WORD_1 src1_sel:WORD_1
	v_fma_f16 v7, v23, s7, v12
	v_fma_f16 v24, v21, s15, v24
	v_add_f16_e32 v3, v3, v5
	v_fma_f16 v7, v21, s2, v7
	v_fma_f16 v5, v3, s5, v24
	;; [unrolled: 1-line block ×3, first 2 shown]
	v_add_f16_e32 v7, v6, v8
	v_pk_add_f16 v18, v18, v9
	v_fma_f16 v7, v7, -0.5, v2
	s_waitcnt lgkmcnt(0)
	v_sub_f16_sdwa v9, v4, v14 dst_sel:DWORD dst_unused:UNUSED_PAD src0_sel:WORD_1 src1_sel:WORD_1
	v_fma_f16 v12, v9, s4, v7
	v_sub_f16_sdwa v21, v6, v8 dst_sel:DWORD dst_unused:UNUSED_PAD src0_sel:WORD_1 src1_sel:WORD_1
	v_sub_f16_e32 v23, v14, v8
	v_sub_f16_e32 v24, v4, v6
	v_fma_f16 v7, v9, s7, v7
	v_fma_f16 v12, v21, s2, v12
	v_add_f16_e32 v23, v24, v23
	v_fma_f16 v7, v21, s15, v7
	v_fma_f16 v12, v23, s5, v12
	;; [unrolled: 1-line block ×3, first 2 shown]
	v_add_f16_e32 v23, v4, v14
	v_fma_f16 v23, v23, -0.5, v2
	v_fma_f16 v24, v21, s7, v23
	v_sub_f16_e32 v25, v8, v14
	v_sub_f16_e32 v26, v6, v4
	v_fma_f16 v21, v21, s4, v23
	v_fma_f16 v24, v9, s2, v24
	v_add_f16_e32 v25, v26, v25
	v_fma_f16 v9, v9, s15, v21
	v_pk_add_f16 v21, v2, v4
	v_add_f16_sdwa v23, v6, v8 dst_sel:DWORD dst_unused:UNUSED_PAD src0_sel:WORD_1 src1_sel:WORD_1
	v_lshrrev_b32_e32 v2, 16, v2
	v_fma_f16 v24, v25, s5, v24
	v_fma_f16 v9, v25, s5, v9
	v_fma_f16 v23, v23, -0.5, v2
	v_sub_f16_e32 v25, v4, v14
	v_fma_f16 v26, v25, s7, v23
	v_sub_f16_e32 v27, v6, v8
	v_sub_f16_sdwa v28, v4, v6 dst_sel:DWORD dst_unused:UNUSED_PAD src0_sel:WORD_1 src1_sel:WORD_1
	v_sub_f16_sdwa v29, v14, v8 dst_sel:DWORD dst_unused:UNUSED_PAD src0_sel:WORD_1 src1_sel:WORD_1
	v_fma_f16 v23, v25, s4, v23
	v_fma_f16 v26, v27, s15, v26
	v_add_f16_e32 v28, v28, v29
	v_fma_f16 v23, v27, s2, v23
	v_fma_f16 v26, v28, s5, v26
	;; [unrolled: 1-line block ×3, first 2 shown]
	v_add_f16_sdwa v28, v4, v14 dst_sel:DWORD dst_unused:UNUSED_PAD src0_sel:WORD_1 src1_sel:WORD_1
	v_fma_f16 v2, v28, -0.5, v2
	v_pk_add_f16 v21, v21, v6
	v_fma_f16 v28, v27, s4, v2
	v_sub_f16_sdwa v4, v6, v4 dst_sel:DWORD dst_unused:UNUSED_PAD src0_sel:WORD_1 src1_sel:WORD_1
	v_sub_f16_sdwa v6, v8, v14 dst_sel:DWORD dst_unused:UNUSED_PAD src0_sel:WORD_1 src1_sel:WORD_1
	v_fma_f16 v2, v27, s7, v2
	v_fma_f16 v28, v25, s15, v28
	v_add_f16_e32 v4, v4, v6
	v_fma_f16 v2, v25, s2, v2
	v_fma_f16 v6, v4, s5, v28
	;; [unrolled: 1-line block ×3, first 2 shown]
	v_mul_f16_e32 v4, 0xb8b4, v26
	s_movk_i32 s3, 0x3a79
	v_pk_add_f16 v21, v21, v8
	v_fma_f16 v4, v12, s3, v4
	v_mul_f16_e32 v12, 0x38b4, v12
	v_pk_add_f16 v21, v21, v14
	v_mul_f16_e32 v14, 0xbb9c, v6
	v_mul_f16_e32 v27, 0xbb9c, v2
	s_mov_b32 s20, 0xb4f2
	v_fma_f16 v12, v26, s3, v12
	v_mul_f16_e32 v6, 0x34f2, v6
	v_mul_f16_e32 v2, 0xb4f2, v2
	v_add_f16_e32 v8, v17, v4
	v_fma_f16 v14, v24, s5, v14
	v_fma_f16 v27, v9, s20, v27
	v_mul_f16_e32 v29, 0xb8b4, v23
	s_mov_b32 s20, 0xba79
	v_add_f16_e32 v26, v22, v12
	v_fma_f16 v6, v24, s7, v6
	v_fma_f16 v2, v9, s7, v2
	v_mul_f16_e32 v23, 0xba79, v23
	v_mad_u32_u24 v13, v10, 36, v1
	v_add_f16_e32 v25, v20, v14
	v_add_f16_e32 v28, v16, v27
	v_fma_f16 v29, v7, s20, v29
	v_pk_add_f16 v31, v18, v21
	v_add_f16_e32 v24, v5, v6
	v_add_f16_e32 v9, v3, v2
	v_fma_f16 v7, v7, s15, v23
	v_sub_f16_e32 v5, v5, v6
	v_pack_b32_f16 v6, v8, v26
	v_add_f16_e32 v30, v15, v29
	v_add_f16_e32 v23, v19, v7
	v_sub_f16_e32 v2, v3, v2
	v_sub_f16_e32 v3, v19, v7
	s_waitcnt lgkmcnt(0)
	; wave barrier
	ds_write2_b32 v13, v31, v6 offset1:1
	v_pack_b32_f16 v6, v28, v9
	v_pack_b32_f16 v7, v25, v24
	v_sub_f16_e32 v4, v17, v4
	v_sub_f16_e32 v14, v20, v14
	;; [unrolled: 1-line block ×5, first 2 shown]
	ds_write2_b32 v13, v7, v6 offset0:2 offset1:3
	v_pk_add_f16 v6, v18, v21 neg_lo:[0,1] neg_hi:[0,1]
	v_pack_b32_f16 v7, v30, v23
	ds_write2_b32 v13, v7, v6 offset0:4 offset1:5
	v_pack_b32_f16 v5, v14, v5
	v_pack_b32_f16 v4, v4, v12
	;; [unrolled: 1-line block ×4, first 2 shown]
	v_lshlrev_b32_e32 v6, 4, v10
	ds_write2_b32 v13, v4, v5 offset0:6 offset1:7
	ds_write2_b32 v13, v2, v3 offset0:8 offset1:9
	s_waitcnt lgkmcnt(0)
	; wave barrier
	s_waitcnt lgkmcnt(0)
	global_load_dwordx4 v[2:5], v6, s[8:9]
	v_add_u32_e32 v6, 0x50, v6
	global_load_dwordx4 v[6:9], v6, s[8:9]
	s_movk_i32 s8, 0xffdc
	v_mad_i32_i24 v21, v10, s8, v13
	ds_read_b32 v18, v11
	ds_read_u16 v19, v1 offset:62
	ds_read_b32 v22, v21 offset:20
	ds_read2_b32 v[10:11], v1 offset0:20 offset1:25
	ds_read2_b32 v[12:13], v1 offset0:30 offset1:35
	;; [unrolled: 1-line block ×4, first 2 shown]
	s_waitcnt lgkmcnt(4)
	v_lshrrev_b32_e32 v23, 16, v22
	s_waitcnt lgkmcnt(3)
	v_lshrrev_b32_e32 v24, 16, v11
	;; [unrolled: 2-line block ×5, first 2 shown]
	v_lshrrev_b32_e32 v20, 16, v18
	s_waitcnt lgkmcnt(0)
	; wave barrier
	s_mov_b32 s3, 0
	s_waitcnt vmcnt(1)
	v_mul_f16_sdwa v28, v2, v27 dst_sel:DWORD dst_unused:UNUSED_PAD src0_sel:WORD_1 src1_sel:DWORD
	v_fma_f16 v28, v2, v16, v28
	v_mul_f16_sdwa v16, v2, v16 dst_sel:DWORD dst_unused:UNUSED_PAD src0_sel:WORD_1 src1_sel:DWORD
	v_fma_f16 v2, v2, v27, -v16
	v_lshrrev_b32_e32 v16, 16, v10
	v_mul_f16_sdwa v27, v3, v16 dst_sel:DWORD dst_unused:UNUSED_PAD src0_sel:WORD_1 src1_sel:DWORD
	v_fma_f16 v27, v3, v10, v27
	v_mul_f16_sdwa v10, v3, v10 dst_sel:DWORD dst_unused:UNUSED_PAD src0_sel:WORD_1 src1_sel:DWORD
	v_fma_f16 v3, v3, v16, -v10
	v_lshrrev_b32_e32 v10, 16, v12
	v_mul_f16_sdwa v16, v4, v10 dst_sel:DWORD dst_unused:UNUSED_PAD src0_sel:WORD_1 src1_sel:DWORD
	v_fma_f16 v16, v4, v12, v16
	v_mul_f16_sdwa v12, v4, v12 dst_sel:DWORD dst_unused:UNUSED_PAD src0_sel:WORD_1 src1_sel:DWORD
	v_fma_f16 v4, v4, v10, -v12
	v_lshrrev_b32_e32 v10, 16, v14
	v_mul_f16_sdwa v12, v5, v10 dst_sel:DWORD dst_unused:UNUSED_PAD src0_sel:WORD_1 src1_sel:DWORD
	v_fma_f16 v12, v5, v14, v12
	v_mul_f16_sdwa v14, v5, v14 dst_sel:DWORD dst_unused:UNUSED_PAD src0_sel:WORD_1 src1_sel:DWORD
	v_fma_f16 v5, v5, v10, -v14
	s_waitcnt vmcnt(0)
	v_mul_f16_sdwa v10, v19, v6 dst_sel:DWORD dst_unused:UNUSED_PAD src0_sel:DWORD src1_sel:WORD_1
	v_mul_f16_sdwa v14, v6, v17 dst_sel:DWORD dst_unused:UNUSED_PAD src0_sel:WORD_1 src1_sel:DWORD
	v_fma_f16 v10, v6, v17, v10
	v_fma_f16 v6, v19, v6, -v14
	v_mul_f16_sdwa v14, v24, v7 dst_sel:DWORD dst_unused:UNUSED_PAD src0_sel:DWORD src1_sel:WORD_1
	v_fma_f16 v14, v11, v7, v14
	v_mul_f16_sdwa v11, v11, v7 dst_sel:DWORD dst_unused:UNUSED_PAD src0_sel:DWORD src1_sel:WORD_1
	v_fma_f16 v7, v24, v7, -v11
	v_mul_f16_sdwa v11, v25, v8 dst_sel:DWORD dst_unused:UNUSED_PAD src0_sel:DWORD src1_sel:WORD_1
	v_fma_f16 v11, v13, v8, v11
	v_mul_f16_sdwa v13, v13, v8 dst_sel:DWORD dst_unused:UNUSED_PAD src0_sel:DWORD src1_sel:WORD_1
	v_fma_f16 v8, v25, v8, -v13
	v_mul_f16_sdwa v13, v26, v9 dst_sel:DWORD dst_unused:UNUSED_PAD src0_sel:DWORD src1_sel:WORD_1
	v_add_f16_e32 v17, v27, v16
	v_fma_f16 v13, v15, v9, v13
	v_mul_f16_sdwa v15, v15, v9 dst_sel:DWORD dst_unused:UNUSED_PAD src0_sel:DWORD src1_sel:WORD_1
	v_fma_f16 v17, v17, -0.5, v18
	v_sub_f16_e32 v19, v2, v5
	v_fma_f16 v9, v26, v9, -v15
	v_fma_f16 v24, v19, s4, v17
	v_sub_f16_e32 v25, v3, v4
	v_sub_f16_e32 v26, v28, v27
	;; [unrolled: 1-line block ×3, first 2 shown]
	v_fma_f16 v17, v19, s7, v17
	v_fma_f16 v24, v25, s2, v24
	v_add_f16_e32 v26, v26, v29
	v_fma_f16 v17, v25, s15, v17
	v_add_f16_e32 v15, v18, v28
	v_fma_f16 v24, v26, s5, v24
	v_fma_f16 v17, v26, s5, v17
	v_add_f16_e32 v26, v28, v12
	v_add_f16_e32 v15, v15, v27
	v_fma_f16 v18, v26, -0.5, v18
	v_add_f16_e32 v15, v15, v16
	v_fma_f16 v26, v25, s7, v18
	v_fma_f16 v18, v25, s4, v18
	v_add_f16_e32 v25, v3, v4
	v_add_f16_e32 v15, v15, v12
	v_sub_f16_e32 v29, v27, v28
	v_sub_f16_e32 v30, v16, v12
	v_fma_f16 v25, v25, -0.5, v20
	v_sub_f16_e32 v12, v28, v12
	v_fma_f16 v26, v19, s2, v26
	v_add_f16_e32 v29, v29, v30
	v_fma_f16 v18, v19, s15, v18
	v_fma_f16 v28, v12, s7, v25
	v_sub_f16_e32 v16, v27, v16
	v_fma_f16 v26, v29, s5, v26
	v_fma_f16 v18, v29, s5, v18
	;; [unrolled: 1-line block ×3, first 2 shown]
	v_sub_f16_e32 v28, v2, v3
	v_sub_f16_e32 v29, v5, v4
	v_fma_f16 v25, v12, s4, v25
	v_add_f16_e32 v19, v20, v2
	v_add_f16_e32 v28, v28, v29
	v_fma_f16 v25, v16, s2, v25
	v_add_f16_e32 v19, v19, v3
	v_fma_f16 v27, v28, s5, v27
	v_fma_f16 v25, v28, s5, v25
	v_add_f16_e32 v28, v2, v5
	v_add_f16_e32 v19, v19, v4
	v_fma_f16 v20, v28, -0.5, v20
	v_add_f16_e32 v19, v19, v5
	v_fma_f16 v28, v16, s4, v20
	v_sub_f16_e32 v2, v3, v2
	v_sub_f16_e32 v3, v4, v5
	v_fma_f16 v4, v16, s7, v20
	v_add_f16_e32 v5, v14, v11
	v_fma_f16 v28, v12, s15, v28
	v_add_f16_e32 v2, v2, v3
	v_fma_f16 v4, v12, s2, v4
	v_fma_f16 v5, v5, -0.5, v22
	v_sub_f16_e32 v12, v6, v9
	v_fma_f16 v3, v2, s5, v28
	v_fma_f16 v16, v12, s4, v5
	v_sub_f16_e32 v20, v7, v8
	v_sub_f16_e32 v28, v10, v14
	;; [unrolled: 1-line block ×3, first 2 shown]
	v_fma_f16 v5, v12, s7, v5
	v_fma_f16 v16, v20, s2, v16
	v_add_f16_e32 v28, v28, v29
	v_fma_f16 v5, v20, s15, v5
	v_fma_f16 v16, v28, s5, v16
	;; [unrolled: 1-line block ×3, first 2 shown]
	v_add_f16_e32 v28, v10, v13
	v_fma_f16 v2, v2, s5, v4
	v_add_f16_e32 v4, v22, v10
	v_fma_f16 v22, v28, -0.5, v22
	v_add_f16_e32 v4, v4, v14
	v_fma_f16 v28, v20, s7, v22
	v_sub_f16_e32 v29, v14, v10
	v_sub_f16_e32 v30, v11, v13
	v_fma_f16 v20, v20, s4, v22
	v_add_f16_e32 v22, v7, v8
	v_add_f16_e32 v4, v4, v11
	v_fma_f16 v28, v12, s2, v28
	v_add_f16_e32 v29, v29, v30
	v_fma_f16 v12, v12, s15, v20
	v_fma_f16 v22, v22, -0.5, v23
	v_sub_f16_e32 v10, v10, v13
	v_add_f16_e32 v4, v4, v13
	v_fma_f16 v28, v29, s5, v28
	v_fma_f16 v12, v29, s5, v12
	;; [unrolled: 1-line block ×3, first 2 shown]
	v_sub_f16_e32 v11, v14, v11
	v_sub_f16_e32 v14, v6, v7
	;; [unrolled: 1-line block ×3, first 2 shown]
	v_fma_f16 v22, v10, s4, v22
	v_fma_f16 v13, v11, s15, v13
	v_add_f16_e32 v14, v14, v29
	v_fma_f16 v22, v11, s2, v22
	v_add_f16_e32 v20, v23, v6
	v_fma_f16 v13, v14, s5, v13
	v_fma_f16 v14, v14, s5, v22
	v_add_f16_e32 v22, v6, v9
	v_add_f16_e32 v20, v20, v7
	v_fma_f16 v22, v22, -0.5, v23
	v_add_f16_e32 v20, v20, v8
	v_fma_f16 v23, v11, s4, v22
	v_sub_f16_e32 v6, v7, v6
	v_sub_f16_e32 v7, v8, v9
	v_fma_f16 v8, v11, s7, v22
	v_fma_f16 v23, v10, s15, v23
	v_add_f16_e32 v6, v6, v7
	v_fma_f16 v8, v10, s2, v8
	v_fma_f16 v7, v6, s5, v23
	;; [unrolled: 1-line block ×3, first 2 shown]
	v_pack_b32_f16 v8, v15, v19
	ds_write_b32 v21, v8
	v_pack_b32_f16 v8, v24, v27
	v_pack_b32_f16 v3, v26, v3
	v_add_f16_e32 v20, v20, v9
	ds_write2_b32 v1, v8, v3 offset0:10 offset1:20
	v_pack_b32_f16 v2, v18, v2
	v_pack_b32_f16 v3, v17, v25
	ds_write2_b32 v1, v2, v3 offset0:30 offset1:40
	v_pack_b32_f16 v1, v4, v20
	s_mov_b32 s2, 0x1999999a
	ds_write_b32 v21, v1 offset:20
	ds_write_b16 v21, v16 offset:60
	ds_write_b16 v21, v13 offset:62
	;; [unrolled: 1-line block ×8, first 2 shown]
	v_mul_hi_u32 v1, v0, s2
	v_mul_u32_u24_e32 v2, 10, v1
	v_sub_u32_e32 v0, v0, v2
	v_add_u32_e32 v2, s36, v0
	v_cmp_gt_u32_e32 vcc, s16, v2
	s_or_b64 s[4:5], s[18:19], vcc
	s_waitcnt lgkmcnt(0)
	; wave barrier
	s_waitcnt lgkmcnt(0)
	s_and_saveexec_b64 s[8:9], s[4:5]
	s_cbranch_execz .LBB0_16
; %bb.15:
	s_load_dwordx2 s[0:1], s[0:1], 0x60
	s_mul_i32 s4, s13, s36
	s_mul_hi_u32 s5, s12, s36
	s_mul_i32 s7, s11, s17
	s_mul_hi_u32 s8, s10, s17
	s_add_i32 s5, s5, s4
	s_mul_i32 s4, s12, s36
	s_add_i32 s9, s8, s7
	s_mul_i32 s8, s10, s17
	v_mad_u64_u32 v[2:3], s[10:11], s12, v0, 0
	v_mov_b32_e32 v4, v3
	s_lshl_b64 s[4:5], s[4:5], 2
	s_mul_i32 s2, s33, s14
	v_mad_u64_u32 v[4:5], s[10:11], s13, v0, v[4:5]
	s_waitcnt lgkmcnt(0)
	s_add_u32 s4, s0, s4
	v_mov_b32_e32 v3, v4
	v_mul_lo_u32 v4, v1, s6
	v_mul_i32_i24_e32 v0, 0xc8, v0
	v_lshlrev_b32_e32 v1, 2, v1
	s_addc_u32 s5, s1, s5
	s_lshl_b64 s[0:1], s[2:3], 2
	v_add3_u32 v10, 0, v0, v1
	s_add_u32 s2, s4, s0
	s_addc_u32 s3, s5, s1
	s_lshl_b64 s[0:1], s[8:9], 2
	ds_read2_b32 v[0:1], v10 offset1:5
	s_add_u32 s0, s2, s0
	s_addc_u32 s1, s3, s1
	ds_read2_b32 v[8:9], v10 offset0:10 offset1:15
	v_mov_b32_e32 v5, 0
	v_lshl_add_u64 v[2:3], v[2:3], 2, s[0:1]
	s_mul_i32 s0, s6, 5
	v_lshl_add_u64 v[6:7], v[4:5], 2, v[2:3]
	v_add_u32_e32 v4, s0, v4
	s_waitcnt lgkmcnt(1)
	global_store_dword v[6:7], v0, off
	v_lshl_add_u64 v[6:7], v[4:5], 2, v[2:3]
	v_add_u32_e32 v4, s0, v4
	global_store_dword v[6:7], v1, off
	v_lshl_add_u64 v[0:1], v[4:5], 2, v[2:3]
	s_waitcnt lgkmcnt(0)
	global_store_dword v[0:1], v8, off
	ds_read2_b32 v[0:1], v10 offset0:20 offset1:25
	v_add_u32_e32 v4, s0, v4
	v_lshl_add_u64 v[6:7], v[4:5], 2, v[2:3]
	v_add_u32_e32 v4, s0, v4
	global_store_dword v[6:7], v9, off
	v_lshl_add_u64 v[6:7], v[4:5], 2, v[2:3]
	s_waitcnt lgkmcnt(0)
	global_store_dword v[6:7], v0, off
	ds_read2_b32 v[6:7], v10 offset0:30 offset1:35
	v_add_u32_e32 v4, s0, v4
	;; [unrolled: 8-line block ×3, first 2 shown]
	v_lshl_add_u64 v[8:9], v[4:5], 2, v[2:3]
	v_add_u32_e32 v4, s0, v4
	global_store_dword v[8:9], v7, off
	v_lshl_add_u64 v[6:7], v[4:5], 2, v[2:3]
	v_add_u32_e32 v4, s0, v4
	v_lshl_add_u64 v[2:3], v[4:5], 2, v[2:3]
	s_waitcnt lgkmcnt(0)
	global_store_dword v[6:7], v0, off
	global_store_dword v[2:3], v1, off
.LBB0_16:
	s_endpgm
	.section	.rodata,"a",@progbits
	.p2align	6, 0x0
	.amdhsa_kernel fft_rtc_back_len50_factors_10_5_wgs_50_tpt_5_half_op_CI_CI_sbrc_z_xy_unaligned
		.amdhsa_group_segment_fixed_size 0
		.amdhsa_private_segment_fixed_size 0
		.amdhsa_kernarg_size 104
		.amdhsa_user_sgpr_count 2
		.amdhsa_user_sgpr_dispatch_ptr 0
		.amdhsa_user_sgpr_queue_ptr 0
		.amdhsa_user_sgpr_kernarg_segment_ptr 1
		.amdhsa_user_sgpr_dispatch_id 0
		.amdhsa_user_sgpr_kernarg_preload_length 0
		.amdhsa_user_sgpr_kernarg_preload_offset 0
		.amdhsa_user_sgpr_private_segment_size 0
		.amdhsa_uses_dynamic_stack 0
		.amdhsa_enable_private_segment 0
		.amdhsa_system_sgpr_workgroup_id_x 1
		.amdhsa_system_sgpr_workgroup_id_y 0
		.amdhsa_system_sgpr_workgroup_id_z 0
		.amdhsa_system_sgpr_workgroup_info 0
		.amdhsa_system_vgpr_workitem_id 0
		.amdhsa_next_free_vgpr 32
		.amdhsa_next_free_sgpr 37
		.amdhsa_accum_offset 32
		.amdhsa_reserve_vcc 1
		.amdhsa_float_round_mode_32 0
		.amdhsa_float_round_mode_16_64 0
		.amdhsa_float_denorm_mode_32 3
		.amdhsa_float_denorm_mode_16_64 3
		.amdhsa_dx10_clamp 1
		.amdhsa_ieee_mode 1
		.amdhsa_fp16_overflow 0
		.amdhsa_tg_split 0
		.amdhsa_exception_fp_ieee_invalid_op 0
		.amdhsa_exception_fp_denorm_src 0
		.amdhsa_exception_fp_ieee_div_zero 0
		.amdhsa_exception_fp_ieee_overflow 0
		.amdhsa_exception_fp_ieee_underflow 0
		.amdhsa_exception_fp_ieee_inexact 0
		.amdhsa_exception_int_div_zero 0
	.end_amdhsa_kernel
	.text
.Lfunc_end0:
	.size	fft_rtc_back_len50_factors_10_5_wgs_50_tpt_5_half_op_CI_CI_sbrc_z_xy_unaligned, .Lfunc_end0-fft_rtc_back_len50_factors_10_5_wgs_50_tpt_5_half_op_CI_CI_sbrc_z_xy_unaligned
                                        ; -- End function
	.section	.AMDGPU.csdata,"",@progbits
; Kernel info:
; codeLenInByte = 4252
; NumSgprs: 43
; NumVgprs: 32
; NumAgprs: 0
; TotalNumVgprs: 32
; ScratchSize: 0
; MemoryBound: 0
; FloatMode: 240
; IeeeMode: 1
; LDSByteSize: 0 bytes/workgroup (compile time only)
; SGPRBlocks: 5
; VGPRBlocks: 3
; NumSGPRsForWavesPerEU: 43
; NumVGPRsForWavesPerEU: 32
; AccumOffset: 32
; Occupancy: 8
; WaveLimiterHint : 1
; COMPUTE_PGM_RSRC2:SCRATCH_EN: 0
; COMPUTE_PGM_RSRC2:USER_SGPR: 2
; COMPUTE_PGM_RSRC2:TRAP_HANDLER: 0
; COMPUTE_PGM_RSRC2:TGID_X_EN: 1
; COMPUTE_PGM_RSRC2:TGID_Y_EN: 0
; COMPUTE_PGM_RSRC2:TGID_Z_EN: 0
; COMPUTE_PGM_RSRC2:TIDIG_COMP_CNT: 0
; COMPUTE_PGM_RSRC3_GFX90A:ACCUM_OFFSET: 7
; COMPUTE_PGM_RSRC3_GFX90A:TG_SPLIT: 0
	.text
	.p2alignl 6, 3212836864
	.fill 256, 4, 3212836864
	.type	__hip_cuid_90754abfa0fe6802,@object ; @__hip_cuid_90754abfa0fe6802
	.section	.bss,"aw",@nobits
	.globl	__hip_cuid_90754abfa0fe6802
__hip_cuid_90754abfa0fe6802:
	.byte	0                               ; 0x0
	.size	__hip_cuid_90754abfa0fe6802, 1

	.ident	"AMD clang version 19.0.0git (https://github.com/RadeonOpenCompute/llvm-project roc-6.4.0 25133 c7fe45cf4b819c5991fe208aaa96edf142730f1d)"
	.section	".note.GNU-stack","",@progbits
	.addrsig
	.addrsig_sym __hip_cuid_90754abfa0fe6802
	.amdgpu_metadata
---
amdhsa.kernels:
  - .agpr_count:     0
    .args:
      - .actual_access:  read_only
        .address_space:  global
        .offset:         0
        .size:           8
        .value_kind:     global_buffer
      - .offset:         8
        .size:           8
        .value_kind:     by_value
      - .actual_access:  read_only
        .address_space:  global
        .offset:         16
        .size:           8
        .value_kind:     global_buffer
      - .actual_access:  read_only
        .address_space:  global
        .offset:         24
        .size:           8
        .value_kind:     global_buffer
      - .actual_access:  read_only
        .address_space:  global
        .offset:         32
        .size:           8
        .value_kind:     global_buffer
      - .offset:         40
        .size:           8
        .value_kind:     by_value
      - .actual_access:  read_only
        .address_space:  global
        .offset:         48
        .size:           8
        .value_kind:     global_buffer
      - .actual_access:  read_only
        .address_space:  global
        .offset:         56
        .size:           8
        .value_kind:     global_buffer
      - .offset:         64
        .size:           4
        .value_kind:     by_value
      - .actual_access:  read_only
        .address_space:  global
        .offset:         72
        .size:           8
        .value_kind:     global_buffer
      - .actual_access:  read_only
        .address_space:  global
        .offset:         80
        .size:           8
        .value_kind:     global_buffer
      - .actual_access:  read_only
        .address_space:  global
        .offset:         88
        .size:           8
        .value_kind:     global_buffer
      - .actual_access:  write_only
        .address_space:  global
        .offset:         96
        .size:           8
        .value_kind:     global_buffer
    .group_segment_fixed_size: 0
    .kernarg_segment_align: 8
    .kernarg_segment_size: 104
    .language:       OpenCL C
    .language_version:
      - 2
      - 0
    .max_flat_workgroup_size: 50
    .name:           fft_rtc_back_len50_factors_10_5_wgs_50_tpt_5_half_op_CI_CI_sbrc_z_xy_unaligned
    .private_segment_fixed_size: 0
    .sgpr_count:     43
    .sgpr_spill_count: 0
    .symbol:         fft_rtc_back_len50_factors_10_5_wgs_50_tpt_5_half_op_CI_CI_sbrc_z_xy_unaligned.kd
    .uniform_work_group_size: 1
    .uses_dynamic_stack: false
    .vgpr_count:     32
    .vgpr_spill_count: 0
    .wavefront_size: 64
amdhsa.target:   amdgcn-amd-amdhsa--gfx950
amdhsa.version:
  - 1
  - 2
...

	.end_amdgpu_metadata
